;; amdgpu-corpus repo=ROCm/rocFFT kind=compiled arch=gfx906 opt=O3
	.text
	.amdgcn_target "amdgcn-amd-amdhsa--gfx906"
	.amdhsa_code_object_version 6
	.protected	fft_rtc_fwd_len1792_factors_4_4_4_4_7_wgs_224_tpt_224_halfLds_sp_ip_CI_sbrr_dirReg ; -- Begin function fft_rtc_fwd_len1792_factors_4_4_4_4_7_wgs_224_tpt_224_halfLds_sp_ip_CI_sbrr_dirReg
	.globl	fft_rtc_fwd_len1792_factors_4_4_4_4_7_wgs_224_tpt_224_halfLds_sp_ip_CI_sbrr_dirReg
	.p2align	8
	.type	fft_rtc_fwd_len1792_factors_4_4_4_4_7_wgs_224_tpt_224_halfLds_sp_ip_CI_sbrr_dirReg,@function
fft_rtc_fwd_len1792_factors_4_4_4_4_7_wgs_224_tpt_224_halfLds_sp_ip_CI_sbrr_dirReg: ; @fft_rtc_fwd_len1792_factors_4_4_4_4_7_wgs_224_tpt_224_halfLds_sp_ip_CI_sbrr_dirReg
; %bb.0:
	s_load_dwordx2 s[14:15], s[4:5], 0x18
	s_load_dwordx4 s[8:11], s[4:5], 0x0
	s_load_dwordx2 s[12:13], s[4:5], 0x50
	v_mul_u32_u24_e32 v1, 0x125, v0
	v_add_u32_sdwa v5, s6, v1 dst_sel:DWORD dst_unused:UNUSED_PAD src0_sel:DWORD src1_sel:WORD_1
	s_waitcnt lgkmcnt(0)
	s_load_dwordx2 s[2:3], s[14:15], 0x0
	v_cmp_lt_u64_e64 s[0:1], s[10:11], 2
	v_mov_b32_e32 v3, 0
	v_mov_b32_e32 v1, 0
	;; [unrolled: 1-line block ×3, first 2 shown]
	s_and_b64 vcc, exec, s[0:1]
	v_mov_b32_e32 v2, 0
	s_cbranch_vccnz .LBB0_8
; %bb.1:
	s_load_dwordx2 s[0:1], s[4:5], 0x10
	s_add_u32 s6, s14, 8
	s_addc_u32 s7, s15, 0
	v_mov_b32_e32 v1, 0
	v_mov_b32_e32 v2, 0
	s_waitcnt lgkmcnt(0)
	s_add_u32 s16, s0, 8
	s_addc_u32 s17, s1, 0
	s_mov_b64 s[18:19], 1
.LBB0_2:                                ; =>This Inner Loop Header: Depth=1
	s_load_dwordx2 s[20:21], s[16:17], 0x0
                                        ; implicit-def: $vgpr7_vgpr8
	s_waitcnt lgkmcnt(0)
	v_or_b32_e32 v4, s21, v6
	v_cmp_ne_u64_e32 vcc, 0, v[3:4]
	s_and_saveexec_b64 s[0:1], vcc
	s_xor_b64 s[22:23], exec, s[0:1]
	s_cbranch_execz .LBB0_4
; %bb.3:                                ;   in Loop: Header=BB0_2 Depth=1
	v_cvt_f32_u32_e32 v4, s20
	v_cvt_f32_u32_e32 v7, s21
	s_sub_u32 s0, 0, s20
	s_subb_u32 s1, 0, s21
	v_mac_f32_e32 v4, 0x4f800000, v7
	v_rcp_f32_e32 v4, v4
	v_mul_f32_e32 v4, 0x5f7ffffc, v4
	v_mul_f32_e32 v7, 0x2f800000, v4
	v_trunc_f32_e32 v7, v7
	v_mac_f32_e32 v4, 0xcf800000, v7
	v_cvt_u32_f32_e32 v7, v7
	v_cvt_u32_f32_e32 v4, v4
	v_mul_lo_u32 v8, s0, v7
	v_mul_hi_u32 v9, s0, v4
	v_mul_lo_u32 v11, s1, v4
	v_mul_lo_u32 v10, s0, v4
	v_add_u32_e32 v8, v9, v8
	v_add_u32_e32 v8, v8, v11
	v_mul_hi_u32 v9, v4, v10
	v_mul_lo_u32 v11, v4, v8
	v_mul_hi_u32 v13, v4, v8
	v_mul_hi_u32 v12, v7, v10
	v_mul_lo_u32 v10, v7, v10
	v_mul_hi_u32 v14, v7, v8
	v_add_co_u32_e32 v9, vcc, v9, v11
	v_addc_co_u32_e32 v11, vcc, 0, v13, vcc
	v_mul_lo_u32 v8, v7, v8
	v_add_co_u32_e32 v9, vcc, v9, v10
	v_addc_co_u32_e32 v9, vcc, v11, v12, vcc
	v_addc_co_u32_e32 v10, vcc, 0, v14, vcc
	v_add_co_u32_e32 v8, vcc, v9, v8
	v_addc_co_u32_e32 v9, vcc, 0, v10, vcc
	v_add_co_u32_e32 v4, vcc, v4, v8
	v_addc_co_u32_e32 v7, vcc, v7, v9, vcc
	v_mul_lo_u32 v8, s0, v7
	v_mul_hi_u32 v9, s0, v4
	v_mul_lo_u32 v10, s1, v4
	v_mul_lo_u32 v11, s0, v4
	v_add_u32_e32 v8, v9, v8
	v_add_u32_e32 v8, v8, v10
	v_mul_lo_u32 v12, v4, v8
	v_mul_hi_u32 v13, v4, v11
	v_mul_hi_u32 v14, v4, v8
	;; [unrolled: 1-line block ×3, first 2 shown]
	v_mul_lo_u32 v11, v7, v11
	v_mul_hi_u32 v9, v7, v8
	v_add_co_u32_e32 v12, vcc, v13, v12
	v_addc_co_u32_e32 v13, vcc, 0, v14, vcc
	v_mul_lo_u32 v8, v7, v8
	v_add_co_u32_e32 v11, vcc, v12, v11
	v_addc_co_u32_e32 v10, vcc, v13, v10, vcc
	v_addc_co_u32_e32 v9, vcc, 0, v9, vcc
	v_add_co_u32_e32 v8, vcc, v10, v8
	v_addc_co_u32_e32 v9, vcc, 0, v9, vcc
	v_add_co_u32_e32 v4, vcc, v4, v8
	v_addc_co_u32_e32 v9, vcc, v7, v9, vcc
	v_mad_u64_u32 v[7:8], s[0:1], v5, v9, 0
	v_mul_hi_u32 v10, v5, v4
	v_add_co_u32_e32 v11, vcc, v10, v7
	v_addc_co_u32_e32 v12, vcc, 0, v8, vcc
	v_mad_u64_u32 v[7:8], s[0:1], v6, v4, 0
	v_mad_u64_u32 v[9:10], s[0:1], v6, v9, 0
	v_add_co_u32_e32 v4, vcc, v11, v7
	v_addc_co_u32_e32 v4, vcc, v12, v8, vcc
	v_addc_co_u32_e32 v7, vcc, 0, v10, vcc
	v_add_co_u32_e32 v4, vcc, v4, v9
	v_addc_co_u32_e32 v9, vcc, 0, v7, vcc
	v_mul_lo_u32 v10, s21, v4
	v_mul_lo_u32 v11, s20, v9
	v_mad_u64_u32 v[7:8], s[0:1], s20, v4, 0
	v_add3_u32 v8, v8, v11, v10
	v_sub_u32_e32 v10, v6, v8
	v_mov_b32_e32 v11, s21
	v_sub_co_u32_e32 v7, vcc, v5, v7
	v_subb_co_u32_e64 v10, s[0:1], v10, v11, vcc
	v_subrev_co_u32_e64 v11, s[0:1], s20, v7
	v_subbrev_co_u32_e64 v10, s[0:1], 0, v10, s[0:1]
	v_cmp_le_u32_e64 s[0:1], s21, v10
	v_cndmask_b32_e64 v12, 0, -1, s[0:1]
	v_cmp_le_u32_e64 s[0:1], s20, v11
	v_cndmask_b32_e64 v11, 0, -1, s[0:1]
	v_cmp_eq_u32_e64 s[0:1], s21, v10
	v_cndmask_b32_e64 v10, v12, v11, s[0:1]
	v_add_co_u32_e64 v11, s[0:1], 2, v4
	v_addc_co_u32_e64 v12, s[0:1], 0, v9, s[0:1]
	v_add_co_u32_e64 v13, s[0:1], 1, v4
	v_addc_co_u32_e64 v14, s[0:1], 0, v9, s[0:1]
	v_subb_co_u32_e32 v8, vcc, v6, v8, vcc
	v_cmp_ne_u32_e64 s[0:1], 0, v10
	v_cmp_le_u32_e32 vcc, s21, v8
	v_cndmask_b32_e64 v10, v14, v12, s[0:1]
	v_cndmask_b32_e64 v12, 0, -1, vcc
	v_cmp_le_u32_e32 vcc, s20, v7
	v_cndmask_b32_e64 v7, 0, -1, vcc
	v_cmp_eq_u32_e32 vcc, s21, v8
	v_cndmask_b32_e32 v7, v12, v7, vcc
	v_cmp_ne_u32_e32 vcc, 0, v7
	v_cndmask_b32_e64 v7, v13, v11, s[0:1]
	v_cndmask_b32_e32 v8, v9, v10, vcc
	v_cndmask_b32_e32 v7, v4, v7, vcc
.LBB0_4:                                ;   in Loop: Header=BB0_2 Depth=1
	s_andn2_saveexec_b64 s[0:1], s[22:23]
	s_cbranch_execz .LBB0_6
; %bb.5:                                ;   in Loop: Header=BB0_2 Depth=1
	v_cvt_f32_u32_e32 v4, s20
	s_sub_i32 s22, 0, s20
	v_rcp_iflag_f32_e32 v4, v4
	v_mul_f32_e32 v4, 0x4f7ffffe, v4
	v_cvt_u32_f32_e32 v4, v4
	v_mul_lo_u32 v7, s22, v4
	v_mul_hi_u32 v7, v4, v7
	v_add_u32_e32 v4, v4, v7
	v_mul_hi_u32 v4, v5, v4
	v_mul_lo_u32 v7, v4, s20
	v_add_u32_e32 v8, 1, v4
	v_sub_u32_e32 v7, v5, v7
	v_subrev_u32_e32 v9, s20, v7
	v_cmp_le_u32_e32 vcc, s20, v7
	v_cndmask_b32_e32 v7, v7, v9, vcc
	v_cndmask_b32_e32 v4, v4, v8, vcc
	v_add_u32_e32 v8, 1, v4
	v_cmp_le_u32_e32 vcc, s20, v7
	v_cndmask_b32_e32 v7, v4, v8, vcc
	v_mov_b32_e32 v8, v3
.LBB0_6:                                ;   in Loop: Header=BB0_2 Depth=1
	s_or_b64 exec, exec, s[0:1]
	v_mul_lo_u32 v4, v8, s20
	v_mul_lo_u32 v11, v7, s21
	v_mad_u64_u32 v[9:10], s[0:1], v7, s20, 0
	s_load_dwordx2 s[0:1], s[6:7], 0x0
	s_add_u32 s18, s18, 1
	v_add3_u32 v4, v10, v11, v4
	v_sub_co_u32_e32 v5, vcc, v5, v9
	v_subb_co_u32_e32 v4, vcc, v6, v4, vcc
	s_waitcnt lgkmcnt(0)
	v_mul_lo_u32 v4, s0, v4
	v_mul_lo_u32 v6, s1, v5
	v_mad_u64_u32 v[1:2], s[0:1], s0, v5, v[1:2]
	s_addc_u32 s19, s19, 0
	s_add_u32 s6, s6, 8
	v_add3_u32 v2, v6, v2, v4
	v_mov_b32_e32 v4, s10
	v_mov_b32_e32 v5, s11
	s_addc_u32 s7, s7, 0
	v_cmp_ge_u64_e32 vcc, s[18:19], v[4:5]
	s_add_u32 s16, s16, 8
	s_addc_u32 s17, s17, 0
	s_cbranch_vccnz .LBB0_9
; %bb.7:                                ;   in Loop: Header=BB0_2 Depth=1
	v_mov_b32_e32 v5, v7
	v_mov_b32_e32 v6, v8
	s_branch .LBB0_2
.LBB0_8:
	v_mov_b32_e32 v8, v6
	v_mov_b32_e32 v7, v5
.LBB0_9:
	s_lshl_b64 s[0:1], s[10:11], 3
	s_add_u32 s0, s14, s0
	s_addc_u32 s1, s15, s1
	s_load_dwordx2 s[6:7], s[0:1], 0x0
	s_load_dwordx2 s[10:11], s[4:5], 0x20
                                        ; implicit-def: $vgpr28
	s_waitcnt lgkmcnt(0)
	v_mad_u64_u32 v[1:2], s[0:1], s6, v7, v[1:2]
	s_mov_b32 s0, 0x124924a
	v_mul_lo_u32 v3, s6, v8
	v_mul_lo_u32 v4, s7, v7
	v_mul_hi_u32 v5, v0, s0
	v_cmp_gt_u64_e32 vcc, s[10:11], v[7:8]
	v_cmp_le_u64_e64 s[0:1], s[10:11], v[7:8]
	v_add3_u32 v2, v4, v2, v3
	v_mul_u32_u24_e32 v3, 0xe0, v5
	v_sub_u32_e32 v27, v0, v3
                                        ; implicit-def: $sgpr6_sgpr7
	s_and_saveexec_b64 s[4:5], s[0:1]
	s_xor_b64 s[0:1], exec, s[4:5]
; %bb.10:
	v_add_u32_e32 v28, 0xe0, v27
	s_mov_b64 s[6:7], 0
; %bb.11:
	s_or_saveexec_b64 s[4:5], s[0:1]
	v_mov_b32_e32 v4, s6
	v_lshlrev_b64 v[8:9], 3, v[1:2]
	v_mov_b32_e32 v15, s7
	v_mov_b32_e32 v6, s6
	;; [unrolled: 1-line block ×7, first 2 shown]
                                        ; implicit-def: $vgpr13
                                        ; implicit-def: $vgpr1
                                        ; implicit-def: $vgpr3
                                        ; implicit-def: $vgpr17
	s_xor_b64 exec, exec, s[4:5]
	s_cbranch_execz .LBB0_13
; %bb.12:
	v_mad_u64_u32 v[0:1], s[0:1], s2, v27, 0
	v_add_u32_e32 v5, 0x1c0, v27
	v_mov_b32_e32 v4, s13
	v_mad_u64_u32 v[1:2], s[0:1], s3, v27, v[1:2]
	v_mad_u64_u32 v[2:3], s[0:1], s2, v5, 0
	v_add_co_u32_e64 v10, s[0:1], s12, v8
	v_addc_co_u32_e64 v11, s[0:1], v4, v9, s[0:1]
	v_mad_u64_u32 v[3:4], s[0:1], s3, v5, v[3:4]
	v_add_u32_e32 v6, 0x380, v27
	v_mad_u64_u32 v[4:5], s[0:1], s2, v6, 0
	v_lshlrev_b64 v[0:1], 3, v[0:1]
	v_add_u32_e32 v28, 0xe0, v27
	v_add_co_u32_e64 v18, s[0:1], v10, v0
	v_addc_co_u32_e64 v19, s[0:1], v11, v1, s[0:1]
	v_lshlrev_b64 v[0:1], 3, v[2:3]
	v_mov_b32_e32 v2, v5
	v_mad_u64_u32 v[2:3], s[0:1], s3, v6, v[2:3]
	v_add_u32_e32 v3, 0x540, v27
	v_mad_u64_u32 v[6:7], s[0:1], s2, v3, 0
	v_add_co_u32_e64 v20, s[0:1], v10, v0
	v_mov_b32_e32 v5, v2
	v_mov_b32_e32 v2, v7
	v_addc_co_u32_e64 v21, s[0:1], v11, v1, s[0:1]
	v_mad_u64_u32 v[2:3], s[0:1], s3, v3, v[2:3]
	v_lshlrev_b64 v[0:1], 3, v[4:5]
	v_mad_u64_u32 v[3:4], s[0:1], s2, v28, 0
	v_add_co_u32_e64 v22, s[0:1], v10, v0
	v_mov_b32_e32 v7, v2
	v_mov_b32_e32 v2, v4
	v_addc_co_u32_e64 v23, s[0:1], v11, v1, s[0:1]
	v_lshlrev_b64 v[0:1], 3, v[6:7]
	v_mad_u64_u32 v[4:5], s[0:1], s3, v28, v[2:3]
	v_add_u32_e32 v7, 0x2a0, v27
	v_mad_u64_u32 v[5:6], s[0:1], s2, v7, 0
	v_add_co_u32_e64 v24, s[0:1], v10, v0
	v_mov_b32_e32 v2, v6
	v_addc_co_u32_e64 v25, s[0:1], v11, v1, s[0:1]
	v_lshlrev_b64 v[0:1], 3, v[3:4]
	v_mad_u64_u32 v[2:3], s[0:1], s3, v7, v[2:3]
	v_add_u32_e32 v7, 0x460, v27
	v_mad_u64_u32 v[3:4], s[0:1], s2, v7, 0
	v_add_co_u32_e64 v29, s[0:1], v10, v0
	v_mov_b32_e32 v6, v2
	v_mov_b32_e32 v2, v4
	v_addc_co_u32_e64 v30, s[0:1], v11, v1, s[0:1]
	v_lshlrev_b64 v[0:1], 3, v[5:6]
	v_mad_u64_u32 v[4:5], s[0:1], s3, v7, v[2:3]
	v_add_u32_e32 v7, 0x620, v27
	v_mad_u64_u32 v[5:6], s[0:1], s2, v7, 0
	v_add_co_u32_e64 v31, s[0:1], v10, v0
	v_mov_b32_e32 v2, v6
	v_addc_co_u32_e64 v32, s[0:1], v11, v1, s[0:1]
	v_lshlrev_b64 v[0:1], 3, v[3:4]
	v_mad_u64_u32 v[2:3], s[0:1], s3, v7, v[2:3]
	v_add_co_u32_e64 v33, s[0:1], v10, v0
	v_mov_b32_e32 v6, v2
	v_addc_co_u32_e64 v34, s[0:1], v11, v1, s[0:1]
	v_lshlrev_b64 v[0:1], 3, v[5:6]
	v_add_co_u32_e64 v35, s[0:1], v10, v0
	v_addc_co_u32_e64 v36, s[0:1], v11, v1, s[0:1]
	global_load_dwordx2 v[4:5], v[18:19], off
	global_load_dwordx2 v[14:15], v[20:21], off
	;; [unrolled: 1-line block ×8, first 2 shown]
.LBB0_13:
	s_or_b64 exec, exec, s[4:5]
	s_waitcnt vmcnt(5)
	v_sub_f32_e32 v18, v4, v12
	s_waitcnt vmcnt(4)
	v_sub_f32_e32 v20, v14, v16
	v_sub_f32_e32 v19, v5, v13
	v_fma_f32 v13, v4, 2.0, -v18
	v_sub_f32_e32 v17, v15, v17
	v_fma_f32 v4, v14, 2.0, -v20
	v_fma_f32 v5, v5, 2.0, -v19
	;; [unrolled: 1-line block ×3, first 2 shown]
	v_sub_f32_e32 v4, v13, v4
	v_sub_f32_e32 v12, v5, v12
	v_fma_f32 v14, v13, 2.0, -v4
	v_add_f32_e32 v13, v20, v19
	v_fma_f32 v16, v5, 2.0, -v12
	v_sub_f32_e32 v5, v18, v17
	v_fma_f32 v17, v19, 2.0, -v13
	s_waitcnt vmcnt(1)
	v_sub_f32_e32 v19, v6, v0
	s_waitcnt vmcnt(0)
	v_sub_f32_e32 v21, v10, v2
	v_sub_f32_e32 v20, v7, v1
	v_fma_f32 v1, v6, 2.0, -v19
	v_sub_f32_e32 v3, v11, v3
	v_fma_f32 v0, v10, 2.0, -v21
	v_fma_f32 v7, v7, 2.0, -v20
	;; [unrolled: 1-line block ×3, first 2 shown]
	v_sub_f32_e32 v0, v1, v0
	v_sub_f32_e32 v2, v7, v2
	v_fma_f32 v6, v1, 2.0, -v0
	v_sub_f32_e32 v1, v19, v3
	v_lshl_add_u32 v29, v27, 4, 0
	v_fma_f32 v15, v18, 2.0, -v5
	v_fma_f32 v18, v7, 2.0, -v2
	;; [unrolled: 1-line block ×3, first 2 shown]
	v_lshl_add_u32 v10, v28, 4, 0
	v_mad_i32_i24 v11, v27, -12, v29
	v_and_b32_e32 v30, 3, v27
	v_add_f32_e32 v3, v21, v20
	ds_write2_b64 v29, v[14:15], v[4:5] offset1:1
	ds_write2_b64 v10, v[6:7], v[0:1] offset1:1
	v_add_u32_e32 v25, 0xa80, v11
	v_add_u32_e32 v22, 0x1180, v11
	v_mad_i32_i24 v23, v28, -12, v10
	v_mul_u32_u24_e32 v0, 3, v30
	v_fma_f32 v19, v20, 2.0, -v3
	s_waitcnt lgkmcnt(0)
	s_barrier
	ds_read2st64_b32 v[4:5], v11 offset1:7
	ds_read2_b32 v[6:7], v25 offset1:224
	ds_read2_b32 v[14:15], v22 offset1:224
	ds_read_b32 v24, v23
	ds_read_b32 v26, v11 offset:6272
	s_waitcnt lgkmcnt(0)
	s_barrier
	ds_write2_b64 v29, v[16:17], v[12:13] offset1:1
	ds_write2_b64 v10, v[18:19], v[2:3] offset1:1
	v_lshlrev_b32_e32 v16, 3, v0
	s_waitcnt lgkmcnt(0)
	s_barrier
	global_load_dwordx4 v[0:3], v16, s[8:9]
	global_load_dwordx2 v[12:13], v16, s[8:9] offset:16
	ds_read2_b32 v[16:17], v25 offset1:224
	ds_read2st64_b32 v[18:19], v11 offset1:7
	ds_read2_b32 v[20:21], v22 offset1:224
	ds_read_b32 v31, v11 offset:6272
	ds_read_b32 v32, v23
	s_movk_i32 s0, 0x3f0
	s_waitcnt vmcnt(0) lgkmcnt(0)
	s_barrier
	v_mul_f32_e32 v33, v17, v3
	v_mul_f32_e32 v34, v16, v1
	;; [unrolled: 1-line block ×10, first 2 shown]
	v_fma_f32 v7, v7, v2, -v33
	v_fma_f32 v6, v6, v0, -v34
	v_fmac_f32_e32 v35, v17, v2
	v_fmac_f32_e32 v36, v16, v0
	v_fma_f32 v5, v5, v0, -v37
	v_fmac_f32_e32 v1, v19, v0
	v_fma_f32 v0, v14, v2, -v38
	v_fmac_f32_e32 v3, v20, v2
	v_fma_f32 v2, v15, v12, -v39
	v_fmac_f32_e32 v40, v21, v12
	v_mul_f32_e32 v14, v31, v13
	v_mul_f32_e32 v13, v26, v13
	v_sub_f32_e32 v7, v4, v7
	v_sub_f32_e32 v2, v5, v2
	v_fma_f32 v14, v26, v12, -v14
	v_fmac_f32_e32 v13, v31, v12
	v_fma_f32 v4, v4, 2.0, -v7
	v_sub_f32_e32 v12, v1, v40
	v_fma_f32 v5, v5, 2.0, -v2
	v_lshlrev_b32_e32 v33, 2, v27
	v_sub_f32_e32 v5, v4, v5
	v_sub_f32_e32 v15, v7, v12
	v_and_or_b32 v16, v33, s0, v30
	v_fma_f32 v4, v4, 2.0, -v5
	v_fma_f32 v7, v7, 2.0, -v15
	v_lshl_add_u32 v16, v16, 2, 0
	v_sub_f32_e32 v0, v24, v0
	v_sub_f32_e32 v14, v6, v14
	ds_write2_b32 v16, v4, v7 offset1:4
	ds_write2_b32 v16, v5, v15 offset0:8 offset1:12
	v_fma_f32 v4, v24, 2.0, -v0
	v_sub_f32_e32 v15, v36, v13
	v_fma_f32 v5, v6, 2.0, -v14
	s_movk_i32 s0, 0x7f0
	v_lshlrev_b32_e32 v34, 2, v28
	v_sub_f32_e32 v5, v4, v5
	v_sub_f32_e32 v6, v0, v15
	v_and_or_b32 v7, v34, s0, v30
	v_fma_f32 v4, v4, 2.0, -v5
	v_fma_f32 v0, v0, 2.0, -v6
	v_lshl_add_u32 v17, v7, 2, 0
	ds_write2_b32 v17, v4, v0 offset1:4
	v_sub_f32_e32 v0, v18, v35
	v_fma_f32 v4, v18, 2.0, -v0
	v_fma_f32 v1, v1, 2.0, -v12
	v_sub_f32_e32 v1, v4, v1
	v_add_f32_e32 v2, v0, v2
	v_fma_f32 v18, v4, 2.0, -v1
	v_fma_f32 v0, v0, 2.0, -v2
	ds_write2_b32 v17, v5, v6 offset0:8 offset1:12
	s_waitcnt lgkmcnt(0)
	s_barrier
	ds_read2st64_b32 v[4:5], v11 offset1:7
	ds_read_b32 v24, v23
	ds_read_b32 v26, v11 offset:6272
	ds_read2_b32 v[6:7], v25 offset1:224
	ds_read2_b32 v[12:13], v22 offset1:224
	s_waitcnt lgkmcnt(0)
	s_barrier
	ds_write2_b32 v16, v18, v0 offset1:4
	ds_write2_b32 v16, v1, v2 offset0:8 offset1:12
	v_sub_f32_e32 v0, v32, v3
	v_fma_f32 v1, v32, 2.0, -v0
	v_fma_f32 v2, v36, 2.0, -v15
	v_sub_f32_e32 v2, v1, v2
	v_add_f32_e32 v3, v0, v14
	v_fma_f32 v1, v1, 2.0, -v2
	v_fma_f32 v0, v0, 2.0, -v3
	v_and_b32_e32 v30, 15, v27
	ds_write2_b32 v17, v1, v0 offset1:4
	ds_write2_b32 v17, v2, v3 offset0:8 offset1:12
	v_mul_u32_u24_e32 v0, 3, v30
	v_lshlrev_b32_e32 v16, 3, v0
	s_waitcnt lgkmcnt(0)
	s_barrier
	global_load_dwordx4 v[0:3], v16, s[8:9] offset:96
	global_load_dwordx2 v[14:15], v16, s[8:9] offset:112
	ds_read2_b32 v[16:17], v25 offset1:224
	ds_read2st64_b32 v[18:19], v11 offset1:7
	ds_read2_b32 v[20:21], v22 offset1:224
	s_movk_i32 s0, 0x3c0
	v_mul_i32_i24_e32 v39, -12, v27
	s_waitcnt vmcnt(1)
	v_mul_f32_e32 v36, v6, v1
	s_waitcnt lgkmcnt(1)
	v_mul_f32_e32 v37, v19, v1
	v_mul_f32_e32 v32, v16, v1
	v_fmac_f32_e32 v36, v16, v0
	v_fma_f32 v16, v5, v0, -v37
	v_mul_f32_e32 v1, v5, v1
	ds_read_b32 v5, v11 offset:6272
	v_mul_f32_e32 v31, v17, v3
	v_mul_f32_e32 v35, v7, v3
	v_fma_f32 v6, v6, v0, -v32
	v_fmac_f32_e32 v1, v19, v0
	s_waitcnt lgkmcnt(1)
	v_mul_f32_e32 v0, v20, v3
	v_mul_f32_e32 v3, v12, v3
	v_fma_f32 v7, v7, v2, -v31
	v_fmac_f32_e32 v35, v17, v2
	ds_read_b32 v17, v23
	v_fma_f32 v0, v12, v2, -v0
	v_fmac_f32_e32 v3, v20, v2
	s_waitcnt vmcnt(0)
	v_mul_f32_e32 v2, v21, v15
	v_fma_f32 v2, v13, v14, -v2
	v_mul_f32_e32 v12, v13, v15
	s_waitcnt lgkmcnt(1)
	v_mul_f32_e32 v13, v5, v15
	v_mul_f32_e32 v15, v26, v15
	v_fmac_f32_e32 v12, v21, v14
	v_fmac_f32_e32 v15, v5, v14
	v_sub_f32_e32 v5, v4, v7
	v_sub_f32_e32 v2, v16, v2
	v_fma_f32 v4, v4, 2.0, -v5
	v_sub_f32_e32 v7, v1, v12
	v_fma_f32 v12, v16, 2.0, -v2
	v_fma_f32 v13, v26, v14, -v13
	v_sub_f32_e32 v12, v4, v12
	v_sub_f32_e32 v14, v5, v7
	v_and_or_b32 v16, v33, s0, v30
	v_fma_f32 v4, v4, 2.0, -v12
	v_fma_f32 v5, v5, 2.0, -v14
	v_lshl_add_u32 v16, v16, 2, 0
	s_waitcnt lgkmcnt(0)
	s_barrier
	ds_write2_b32 v16, v4, v5 offset1:16
	ds_write2_b32 v16, v12, v14 offset0:32 offset1:48
	v_sub_f32_e32 v0, v24, v0
	v_sub_f32_e32 v5, v6, v13
	v_fma_f32 v4, v24, 2.0, -v0
	v_sub_f32_e32 v21, v36, v15
	v_fma_f32 v6, v6, 2.0, -v5
	s_movk_i32 s0, 0x7c0
	v_sub_f32_e32 v6, v4, v6
	v_sub_f32_e32 v12, v0, v21
	v_and_or_b32 v13, v34, s0, v30
	v_fma_f32 v4, v4, 2.0, -v6
	v_fma_f32 v0, v0, 2.0, -v12
	v_lshl_add_u32 v24, v13, 2, 0
	ds_write2_b32 v24, v4, v0 offset1:16
	v_sub_f32_e32 v0, v18, v35
	v_fma_f32 v4, v18, 2.0, -v0
	v_fma_f32 v1, v1, 2.0, -v7
	v_sub_f32_e32 v1, v4, v1
	v_add_f32_e32 v2, v0, v2
	v_fma_f32 v4, v4, 2.0, -v1
	v_fma_f32 v0, v0, 2.0, -v2
	ds_write2_b32 v24, v6, v12 offset0:32 offset1:48
	s_waitcnt lgkmcnt(0)
	s_barrier
	ds_read2st64_b32 v[14:15], v11 offset1:7
	ds_read_b32 v18, v23
	ds_read_b32 v26, v11 offset:6272
	ds_read2_b32 v[19:20], v25 offset1:224
	ds_read2_b32 v[12:13], v22 offset1:224
	s_waitcnt lgkmcnt(0)
	s_barrier
	ds_write2_b32 v16, v4, v0 offset1:16
	ds_write2_b32 v16, v1, v2 offset0:32 offset1:48
	v_sub_f32_e32 v0, v17, v3
	v_fma_f32 v1, v17, 2.0, -v0
	v_fma_f32 v2, v36, 2.0, -v21
	v_sub_f32_e32 v2, v1, v2
	v_add_f32_e32 v3, v0, v5
	v_fma_f32 v1, v1, 2.0, -v2
	v_fma_f32 v0, v0, 2.0, -v3
	v_and_b32_e32 v35, 63, v28
	ds_write2_b32 v24, v1, v0 offset1:16
	ds_write2_b32 v24, v2, v3 offset0:32 offset1:48
	v_mul_u32_u24_e32 v0, 3, v35
	v_lshlrev_b32_e32 v21, 3, v0
	s_waitcnt lgkmcnt(0)
	s_barrier
	global_load_dwordx2 v[16:17], v21, s[8:9] offset:496
	v_and_b32_e32 v36, 63, v27
	v_mul_u32_u24_e32 v0, 3, v36
	v_lshlrev_b32_e32 v24, 3, v0
	global_load_dwordx2 v[30:31], v24, s[8:9] offset:496
	global_load_dwordx4 v[4:7], v24, s[8:9] offset:480
	global_load_dwordx4 v[0:3], v21, s[8:9] offset:480
	ds_read_b32 v24, v11 offset:6272
	ds_read2_b32 v[21:22], v22 offset1:224
	ds_read_b32 v32, v23
	s_movk_i32 s0, 0x300
	s_waitcnt vmcnt(3) lgkmcnt(2)
	v_mul_f32_e32 v23, v24, v17
	v_mul_f32_e32 v17, v26, v17
	v_fma_f32 v37, v26, v16, -v23
	v_fmac_f32_e32 v17, v24, v16
	ds_read2st64_b32 v[23:24], v11 offset1:7
	ds_read2_b32 v[25:26], v25 offset1:224
	s_waitcnt vmcnt(2) lgkmcnt(3)
	v_mul_f32_e32 v16, v22, v31
	v_fma_f32 v16, v13, v30, -v16
	v_mul_f32_e32 v13, v13, v31
	v_fmac_f32_e32 v13, v22, v30
	s_waitcnt vmcnt(1) lgkmcnt(1)
	v_mul_f32_e32 v22, v24, v5
	v_fma_f32 v30, v15, v4, -v22
	s_waitcnt lgkmcnt(0)
	v_mul_f32_e32 v22, v26, v7
	v_fma_f32 v22, v20, v6, -v22
	v_sub_f32_e32 v31, v14, v22
	v_mul_f32_e32 v22, v15, v5
	v_fmac_f32_e32 v22, v24, v4
	v_sub_f32_e32 v24, v30, v16
	v_fma_f32 v5, v14, 2.0, -v31
	v_and_or_b32 v14, v33, s0, v36
	v_sub_f32_e32 v33, v22, v13
	v_fma_f32 v4, v30, 2.0, -v24
	v_sub_f32_e32 v4, v5, v4
	v_sub_f32_e32 v15, v31, v33
	v_fma_f32 v5, v5, 2.0, -v4
	v_fma_f32 v16, v31, 2.0, -v15
	v_lshl_add_u32 v13, v14, 2, 0
	s_movk_i32 s0, 0x700
	s_waitcnt vmcnt(0)
	s_barrier
	ds_write2st64_b32 v13, v5, v16 offset1:1
	ds_write2st64_b32 v13, v4, v15 offset0:2 offset1:3
	v_and_or_b32 v4, v34, s0, v35
	v_mul_f32_e32 v5, v25, v1
	v_mul_f32_e32 v34, v19, v1
	v_fma_f32 v5, v19, v0, -v5
	v_fmac_f32_e32 v34, v25, v0
	v_mul_f32_e32 v0, v21, v3
	v_fma_f32 v0, v12, v2, -v0
	v_sub_f32_e32 v0, v18, v0
	v_sub_f32_e32 v36, v5, v37
	v_fma_f32 v1, v18, 2.0, -v0
	v_sub_f32_e32 v38, v34, v17
	v_fma_f32 v5, v5, 2.0, -v36
	v_sub_f32_e32 v5, v1, v5
	v_sub_f32_e32 v30, v0, v38
	v_fma_f32 v1, v1, 2.0, -v5
	v_fma_f32 v0, v0, 2.0, -v30
	v_lshl_add_u32 v25, v4, 2, 0
	ds_write2st64_b32 v25, v1, v0 offset1:1
	ds_write2st64_b32 v25, v5, v30 offset0:2 offset1:3
	s_waitcnt lgkmcnt(0)
	s_barrier
	ds_read_b32 v31, v11 offset:6144
	ds_read2st64_b32 v[14:15], v11 offset1:4
	ds_read2st64_b32 v[16:17], v11 offset0:8 offset1:12
	ds_read2st64_b32 v[18:19], v11 offset0:16 offset1:20
	v_mul_i32_i24_e32 v0, -12, v28
	v_add_u32_e32 v35, v10, v0
	v_cmp_gt_u32_e64 s[0:1], 32, v27
	v_lshl_add_u32 v37, v27, 2, 0
                                        ; implicit-def: $vgpr0
                                        ; implicit-def: $vgpr5
                                        ; implicit-def: $vgpr11
	s_and_saveexec_b64 s[4:5], s[0:1]
	s_cbranch_execz .LBB0_15
; %bb.14:
	v_add_u32_e32 v10, 0x80, v37
	ds_read_b32 v30, v35
	ds_read2st64_b32 v[0:1], v10 offset0:7 offset1:11
	ds_read2st64_b32 v[4:5], v10 offset0:15 offset1:19
	;; [unrolled: 1-line block ×3, first 2 shown]
.LBB0_15:
	s_or_b64 exec, exec, s[4:5]
	v_mul_f32_e32 v7, v20, v7
	v_fmac_f32_e32 v7, v26, v6
	v_mul_f32_e32 v3, v12, v3
	v_fmac_f32_e32 v3, v21, v2
	v_sub_f32_e32 v2, v23, v7
	v_fma_f32 v6, v23, 2.0, -v2
	v_fma_f32 v7, v22, 2.0, -v33
	v_sub_f32_e32 v3, v32, v3
	v_sub_f32_e32 v7, v6, v7
	v_add_f32_e32 v12, v2, v24
	v_fma_f32 v20, v32, 2.0, -v3
	v_fma_f32 v21, v34, 2.0, -v38
	;; [unrolled: 1-line block ×4, first 2 shown]
	v_sub_f32_e32 v21, v20, v21
	v_add_f32_e32 v26, v3, v36
	v_fma_f32 v20, v20, 2.0, -v21
	v_fma_f32 v3, v3, 2.0, -v26
	s_waitcnt lgkmcnt(0)
	s_barrier
	ds_write2st64_b32 v13, v6, v2 offset1:1
	ds_write2st64_b32 v13, v7, v12 offset0:2 offset1:3
	ds_write2st64_b32 v25, v20, v3 offset1:1
	ds_write2st64_b32 v25, v21, v26 offset0:2 offset1:3
	v_add_u32_e32 v2, v29, v39
	s_waitcnt lgkmcnt(0)
	s_barrier
	ds_read2st64_b32 v[20:21], v2 offset1:4
	ds_read2st64_b32 v[22:23], v2 offset0:8 offset1:12
	ds_read2st64_b32 v[24:25], v2 offset0:16 offset1:20
	ds_read_b32 v29, v2 offset:6144
                                        ; implicit-def: $vgpr7
                                        ; implicit-def: $vgpr13
                                        ; implicit-def: $vgpr3
	s_and_saveexec_b64 s[4:5], s[0:1]
	s_cbranch_execz .LBB0_17
; %bb.16:
	v_add_u32_e32 v2, 0x80, v37
	ds_read_b32 v26, v35
	ds_read2st64_b32 v[6:7], v2 offset0:7 offset1:11
	ds_read2st64_b32 v[12:13], v2 offset0:15 offset1:19
	;; [unrolled: 1-line block ×3, first 2 shown]
.LBB0_17:
	s_or_b64 exec, exec, s[4:5]
	s_and_saveexec_b64 s[4:5], vcc
	s_cbranch_execz .LBB0_20
; %bb.18:
	v_mul_u32_u24_e32 v32, 6, v27
	v_lshlrev_b32_e32 v44, 3, v32
	global_load_dwordx4 v[32:35], v44, s[8:9] offset:2016
	global_load_dwordx4 v[36:39], v44, s[8:9] offset:2048
	;; [unrolled: 1-line block ×3, first 2 shown]
	s_mov_b32 s7, 0x3f3bfb3b
	s_mov_b32 s5, 0x3f5ff5aa
	;; [unrolled: 1-line block ×4, first 2 shown]
	v_add_co_u32_e32 v8, vcc, s12, v8
	s_waitcnt vmcnt(2) lgkmcnt(3)
	v_mul_f32_e32 v44, v21, v33
	s_waitcnt vmcnt(1) lgkmcnt(0)
	v_mul_f32_e32 v45, v29, v39
	s_waitcnt vmcnt(0)
	v_mul_f32_e32 v46, v24, v43
	v_mul_f32_e32 v47, v23, v41
	;; [unrolled: 1-line block ×10, first 2 shown]
	v_fma_f32 v18, v18, v42, -v46
	v_fma_f32 v19, v19, v36, -v49
	;; [unrolled: 1-line block ×6, first 2 shown]
	v_fmac_f32_e32 v39, v29, v38
	v_fmac_f32_e32 v33, v21, v32
	;; [unrolled: 1-line block ×6, first 2 shown]
	v_sub_f32_e32 v21, v15, v31
	v_sub_f32_e32 v22, v18, v17
	;; [unrolled: 1-line block ×3, first 2 shown]
	v_add_f32_e32 v24, v33, v39
	v_add_f32_e32 v25, v43, v41
	;; [unrolled: 1-line block ×6, first 2 shown]
	v_sub_f32_e32 v32, v33, v39
	v_sub_f32_e32 v33, v35, v37
	;; [unrolled: 1-line block ×4, first 2 shown]
	v_add_f32_e32 v22, v22, v23
	v_sub_f32_e32 v35, v25, v29
	v_add_f32_e32 v36, v24, v29
	v_sub_f32_e32 v38, v15, v18
	;; [unrolled: 2-line block ×3, first 2 shown]
	v_sub_f32_e32 v23, v23, v21
	v_add_f32_e32 v21, v21, v22
	v_mul_f32_e32 v22, 0x3d64c772, v35
	v_add_f32_e32 v25, v25, v36
	v_mul_f32_e32 v36, 0x3d64c772, v38
	v_add_f32_e32 v38, v15, v39
	v_sub_f32_e32 v16, v43, v41
	v_sub_f32_e32 v37, v31, v15
	v_mov_b32_e32 v43, v22
	v_add_f32_e32 v15, v20, v25
	v_mov_b32_e32 v20, v36
	v_add_f32_e32 v14, v14, v38
	v_sub_f32_e32 v24, v29, v24
	v_mul_f32_e32 v29, 0xbf08b237, v19
	v_mul_f32_e32 v19, 0x3f4a47b2, v34
	;; [unrolled: 1-line block ×3, first 2 shown]
	v_fmac_f32_e32 v43, 0x3f4a47b2, v34
	v_mov_b32_e32 v34, v15
	v_fmac_f32_e32 v20, 0x3f4a47b2, v37
	v_mov_b32_e32 v37, v14
	v_sub_f32_e32 v40, v32, v16
	v_sub_f32_e32 v41, v16, v33
	v_add_f32_e32 v16, v16, v33
	v_fmac_f32_e32 v34, 0xbf955555, v25
	v_fmac_f32_e32 v37, 0xbf955555, v38
	v_fma_f32 v22, v24, s7, -v22
	v_mul_f32_e32 v39, 0xbf08b237, v41
	v_add_f32_e32 v41, v32, v16
	v_mul_f32_e32 v16, 0x3f5ff5aa, v23
	v_mov_b32_e32 v42, v29
	v_fma_f32 v19, v24, s6, -v19
	v_add_f32_e32 v38, v43, v34
	v_add_f32_e32 v43, v20, v37
	v_sub_f32_e32 v20, v18, v31
	v_sub_f32_e32 v25, v33, v32
	v_add_f32_e32 v24, v22, v34
	v_fma_f32 v29, v23, s5, -v29
	v_mad_u64_u32 v[22:23], s[10:11], s2, v27, 0
	v_fma_f32 v18, v20, s6, -v35
	v_fma_f32 v32, v25, s5, -v39
	v_fma_f32 v20, v20, s7, -v36
	v_fma_f32 v45, v17, s4, -v16
	v_fmac_f32_e32 v42, 0x3eae86e6, v17
	v_fmac_f32_e32 v29, 0x3ee1c552, v21
	;; [unrolled: 1-line block ×3, first 2 shown]
	v_add_f32_e32 v33, v20, v37
	v_fmac_f32_e32 v45, 0x3ee1c552, v21
	v_fmac_f32_e32 v42, 0x3ee1c552, v21
	v_add_f32_e32 v31, v18, v37
	v_mul_f32_e32 v18, 0x3f5ff5aa, v25
	v_sub_f32_e32 v21, v24, v29
	v_add_f32_e32 v25, v29, v24
	v_sub_f32_e32 v24, v33, v32
	v_add_f32_e32 v46, v19, v34
	v_add_f32_e32 v20, v32, v33
	v_mad_u64_u32 v[33:34], s[10:11], s3, v27, v[23:24]
	v_fma_f32 v35, v40, s4, -v18
	v_mov_b32_e32 v29, s13
	v_mov_b32_e32 v23, v33
	v_or_b32_e32 v33, 0x100, v27
	v_mad_u64_u32 v[36:37], s[10:11], s2, v33, 0
	v_fmac_f32_e32 v35, 0x3ee1c552, v41
	v_addc_co_u32_e32 v9, vcc, v29, v9, vcc
	v_mov_b32_e32 v29, v37
	v_add_f32_e32 v17, v42, v38
	v_sub_f32_e32 v18, v31, v35
	v_add_f32_e32 v31, v35, v31
	v_sub_f32_e32 v35, v38, v42
	v_mad_u64_u32 v[37:38], s[10:11], s3, v33, v[29:30]
	v_or_b32_e32 v29, 0x200, v27
	v_mov_b32_e32 v44, v39
	v_lshlrev_b64 v[22:23], 3, v[22:23]
	v_mad_u64_u32 v[38:39], s[10:11], s2, v29, 0
	v_add_co_u32_e32 v22, vcc, v8, v22
	v_addc_co_u32_e32 v23, vcc, v9, v23, vcc
	global_store_dwordx2 v[22:23], v[14:15], off
	v_mov_b32_e32 v22, v39
	v_mad_u64_u32 v[22:23], s[10:11], s3, v29, v[22:23]
	v_or_b32_e32 v29, 0x300, v27
	v_lshlrev_b64 v[14:15], 3, v[36:37]
	v_mov_b32_e32 v39, v22
	v_mad_u64_u32 v[22:23], s[10:11], s2, v29, 0
	v_fmac_f32_e32 v44, 0x3eae86e6, v40
	v_fmac_f32_e32 v44, 0x3ee1c552, v41
	v_add_co_u32_e32 v14, vcc, v8, v14
	v_add_f32_e32 v34, v44, v43
	v_addc_co_u32_e32 v15, vcc, v9, v15, vcc
	global_store_dwordx2 v[14:15], v[34:35], off
	v_mad_u64_u32 v[33:34], s[10:11], s3, v29, v[23:24]
	v_or_b32_e32 v29, 0x400, v27
	v_lshlrev_b64 v[14:15], 3, v[38:39]
	v_mad_u64_u32 v[34:35], s[10:11], s2, v29, 0
	v_add_co_u32_e32 v14, vcc, v8, v14
	v_sub_f32_e32 v32, v46, v45
	v_addc_co_u32_e32 v15, vcc, v9, v15, vcc
	v_mov_b32_e32 v23, v33
	global_store_dwordx2 v[14:15], v[31:32], off
	v_lshlrev_b64 v[14:15], 3, v[22:23]
	v_mov_b32_e32 v22, v35
	v_mad_u64_u32 v[22:23], s[10:11], s3, v29, v[22:23]
	v_add_co_u32_e32 v14, vcc, v8, v14
	v_addc_co_u32_e32 v15, vcc, v9, v15, vcc
	global_store_dwordx2 v[14:15], v[24:25], off
	v_or_b32_e32 v24, 0x500, v27
	v_mov_b32_e32 v35, v22
	v_mad_u64_u32 v[22:23], s[10:11], s2, v24, 0
	v_or_b32_e32 v29, 0x600, v27
	v_lshlrev_b64 v[14:15], 3, v[34:35]
	v_mad_u64_u32 v[23:24], s[10:11], s3, v24, v[23:24]
	v_mad_u64_u32 v[24:25], s[10:11], s2, v29, 0
	v_add_co_u32_e32 v14, vcc, v8, v14
	v_addc_co_u32_e32 v15, vcc, v9, v15, vcc
	global_store_dwordx2 v[14:15], v[20:21], off
	v_mov_b32_e32 v20, v25
	v_mad_u64_u32 v[20:21], s[10:11], s3, v29, v[20:21]
	v_lshlrev_b64 v[14:15], 3, v[22:23]
	v_add_f32_e32 v19, v45, v46
	v_add_co_u32_e32 v14, vcc, v8, v14
	v_addc_co_u32_e32 v15, vcc, v9, v15, vcc
	v_mov_b32_e32 v25, v20
	global_store_dwordx2 v[14:15], v[18:19], off
	v_lshlrev_b64 v[14:15], 3, v[24:25]
	v_sub_f32_e32 v16, v43, v44
	v_add_co_u32_e32 v14, vcc, v8, v14
	v_addc_co_u32_e32 v15, vcc, v9, v15, vcc
	global_store_dwordx2 v[14:15], v[16:17], off
	s_and_b64 exec, exec, s[0:1]
	s_cbranch_execz .LBB0_20
; %bb.19:
	v_mov_b32_e32 v14, 6
	v_mul_u32_u24_sdwa v14, v28, v14 dst_sel:DWORD dst_unused:UNUSED_PAD src0_sel:BYTE_0 src1_sel:DWORD
	v_lshlrev_b32_e32 v28, 3, v14
	global_load_dwordx4 v[14:17], v28, s[8:9] offset:2016
	global_load_dwordx4 v[18:21], v28, s[8:9] offset:2032
	;; [unrolled: 1-line block ×3, first 2 shown]
	s_waitcnt vmcnt(2)
	v_mul_f32_e32 v28, v6, v15
	v_mul_f32_e32 v15, v0, v15
	;; [unrolled: 1-line block ×3, first 2 shown]
	s_waitcnt vmcnt(0)
	v_mul_f32_e32 v33, v2, v23
	v_mul_f32_e32 v23, v10, v23
	;; [unrolled: 1-line block ×9, first 2 shown]
	v_fma_f32 v0, v0, v14, -v28
	v_fmac_f32_e32 v15, v6, v14
	v_fma_f32 v1, v1, v16, -v29
	v_fma_f32 v6, v10, v22, -v33
	v_fmac_f32_e32 v23, v2, v22
	v_fma_f32 v2, v11, v24, -v34
	v_fmac_f32_e32 v17, v7, v16
	;; [unrolled: 2-line block ×4, first 2 shown]
	v_fmac_f32_e32 v25, v3, v24
	v_add_f32_e32 v3, v0, v2
	v_add_f32_e32 v10, v1, v6
	;; [unrolled: 1-line block ×3, first 2 shown]
	v_sub_f32_e32 v0, v0, v2
	v_add_f32_e32 v11, v17, v23
	v_sub_f32_e32 v1, v1, v6
	v_sub_f32_e32 v6, v17, v23
	v_add_f32_e32 v12, v4, v5
	v_add_f32_e32 v13, v19, v21
	v_sub_f32_e32 v4, v5, v4
	v_sub_f32_e32 v5, v21, v19
	v_add_f32_e32 v14, v10, v3
	v_sub_f32_e32 v2, v15, v25
	v_add_f32_e32 v15, v11, v7
	v_sub_f32_e32 v16, v10, v3
	v_sub_f32_e32 v17, v11, v7
	v_sub_f32_e32 v3, v3, v12
	v_sub_f32_e32 v7, v7, v13
	v_sub_f32_e32 v10, v12, v10
	v_sub_f32_e32 v11, v13, v11
	v_add_f32_e32 v18, v4, v1
	v_add_f32_e32 v19, v5, v6
	v_sub_f32_e32 v20, v4, v1
	v_sub_f32_e32 v21, v5, v6
	;; [unrolled: 1-line block ×3, first 2 shown]
	v_add_f32_e32 v12, v12, v14
	v_sub_f32_e32 v4, v0, v4
	v_sub_f32_e32 v5, v2, v5
	;; [unrolled: 1-line block ×3, first 2 shown]
	v_add_f32_e32 v13, v13, v15
	v_add_f32_e32 v14, v18, v0
	;; [unrolled: 1-line block ×3, first 2 shown]
	v_mul_f32_e32 v3, 0x3f4a47b2, v3
	v_mul_f32_e32 v7, 0x3f4a47b2, v7
	;; [unrolled: 1-line block ×7, first 2 shown]
	v_add_f32_e32 v0, v30, v12
	v_mul_f32_e32 v23, 0x3f5ff5aa, v6
	v_add_f32_e32 v1, v26, v13
	v_fma_f32 v15, v16, s7, -v15
	v_fma_f32 v18, v17, s7, -v18
	;; [unrolled: 1-line block ×3, first 2 shown]
	v_fmac_f32_e32 v3, 0x3d64c772, v10
	v_fma_f32 v10, v17, s6, -v7
	v_fma_f32 v17, v22, s5, -v19
	v_fmac_f32_e32 v19, 0x3eae86e6, v4
	v_fma_f32 v21, v4, s4, -v21
	v_mov_b32_e32 v4, v0
	v_fma_f32 v22, v6, s5, -v20
	v_fmac_f32_e32 v20, 0x3eae86e6, v5
	v_fma_f32 v23, v5, s4, -v23
	v_mov_b32_e32 v5, v1
	v_fmac_f32_e32 v4, 0xbf955555, v12
	v_fmac_f32_e32 v5, 0xbf955555, v13
	v_add_f32_e32 v12, v15, v4
	v_add_f32_e32 v15, v16, v4
	v_or_b32_e32 v16, 0xe0, v27
	v_fmac_f32_e32 v7, 0x3d64c772, v11
	v_add_f32_e32 v13, v18, v5
	v_add_f32_e32 v18, v10, v5
	v_mad_u64_u32 v[10:11], s[0:1], s2, v16, 0
	v_fmac_f32_e32 v22, 0x3ee1c552, v2
	v_fmac_f32_e32 v17, 0x3ee1c552, v14
	;; [unrolled: 1-line block ×4, first 2 shown]
	v_sub_f32_e32 v6, v12, v22
	v_add_f32_e32 v12, v22, v12
	v_add_f32_e32 v24, v3, v4
	;; [unrolled: 1-line block ×3, first 2 shown]
	v_fmac_f32_e32 v19, 0x3ee1c552, v14
	v_fmac_f32_e32 v20, 0x3ee1c552, v2
	v_add_f32_e32 v4, v23, v15
	v_sub_f32_e32 v5, v18, v21
	v_add_f32_e32 v7, v17, v13
	v_sub_f32_e32 v13, v13, v17
	v_sub_f32_e32 v14, v15, v23
	v_mad_u64_u32 v[16:17], s[0:1], s3, v16, v[11:12]
	v_add_f32_e32 v15, v21, v18
	v_or_b32_e32 v21, 0x1e0, v27
	v_add_f32_e32 v2, v20, v24
	v_sub_f32_e32 v3, v25, v19
	v_sub_f32_e32 v17, v24, v20
	v_add_f32_e32 v18, v19, v25
	v_mad_u64_u32 v[19:20], s[0:1], s2, v21, 0
	v_mov_b32_e32 v11, v16
	v_lshlrev_b64 v[10:11], 3, v[10:11]
	v_mov_b32_e32 v16, v20
	v_mad_u64_u32 v[20:21], s[0:1], s3, v21, v[16:17]
	v_or_b32_e32 v16, 0x2e0, v27
	v_mad_u64_u32 v[21:22], s[0:1], s2, v16, 0
	v_add_co_u32_e32 v10, vcc, v8, v10
	v_addc_co_u32_e32 v11, vcc, v9, v11, vcc
	global_store_dwordx2 v[10:11], v[0:1], off
	v_mov_b32_e32 v10, v22
	v_mad_u64_u32 v[10:11], s[0:1], s3, v16, v[10:11]
	v_lshlrev_b64 v[0:1], 3, v[19:20]
	v_add_co_u32_e32 v0, vcc, v8, v0
	v_addc_co_u32_e32 v1, vcc, v9, v1, vcc
	v_mov_b32_e32 v22, v10
	v_or_b32_e32 v10, 0x3e0, v27
	global_store_dwordx2 v[0:1], v[2:3], off
	v_mad_u64_u32 v[2:3], s[0:1], s2, v10, 0
	v_lshlrev_b64 v[0:1], 3, v[21:22]
	v_mad_u64_u32 v[10:11], s[0:1], s3, v10, v[3:4]
	v_or_b32_e32 v11, 0x4e0, v27
	v_mad_u64_u32 v[19:20], s[0:1], s2, v11, 0
	v_add_co_u32_e32 v0, vcc, v8, v0
	v_addc_co_u32_e32 v1, vcc, v9, v1, vcc
	v_mov_b32_e32 v3, v10
	global_store_dwordx2 v[0:1], v[4:5], off
	v_lshlrev_b64 v[0:1], 3, v[2:3]
	v_mov_b32_e32 v2, v20
	v_mad_u64_u32 v[2:3], s[0:1], s3, v11, v[2:3]
	v_or_b32_e32 v4, 0x5e0, v27
	v_add_co_u32_e32 v0, vcc, v8, v0
	v_mov_b32_e32 v20, v2
	v_mad_u64_u32 v[2:3], s[0:1], s2, v4, 0
	v_addc_co_u32_e32 v1, vcc, v9, v1, vcc
	global_store_dwordx2 v[0:1], v[6:7], off
	v_mad_u64_u32 v[3:4], s[0:1], s3, v4, v[3:4]
	v_or_b32_e32 v6, 0x6e0, v27
	v_lshlrev_b64 v[0:1], 3, v[19:20]
	v_mad_u64_u32 v[4:5], s[0:1], s2, v6, 0
	v_add_co_u32_e32 v0, vcc, v8, v0
	v_addc_co_u32_e32 v1, vcc, v9, v1, vcc
	global_store_dwordx2 v[0:1], v[12:13], off
	v_lshlrev_b64 v[0:1], 3, v[2:3]
	v_mov_b32_e32 v2, v5
	v_mad_u64_u32 v[2:3], s[0:1], s3, v6, v[2:3]
	v_add_co_u32_e32 v0, vcc, v8, v0
	v_addc_co_u32_e32 v1, vcc, v9, v1, vcc
	v_mov_b32_e32 v5, v2
	global_store_dwordx2 v[0:1], v[14:15], off
	v_lshlrev_b64 v[0:1], 3, v[4:5]
	v_add_co_u32_e32 v0, vcc, v8, v0
	v_addc_co_u32_e32 v1, vcc, v9, v1, vcc
	global_store_dwordx2 v[0:1], v[17:18], off
.LBB0_20:
	s_endpgm
	.section	.rodata,"a",@progbits
	.p2align	6, 0x0
	.amdhsa_kernel fft_rtc_fwd_len1792_factors_4_4_4_4_7_wgs_224_tpt_224_halfLds_sp_ip_CI_sbrr_dirReg
		.amdhsa_group_segment_fixed_size 0
		.amdhsa_private_segment_fixed_size 0
		.amdhsa_kernarg_size 88
		.amdhsa_user_sgpr_count 6
		.amdhsa_user_sgpr_private_segment_buffer 1
		.amdhsa_user_sgpr_dispatch_ptr 0
		.amdhsa_user_sgpr_queue_ptr 0
		.amdhsa_user_sgpr_kernarg_segment_ptr 1
		.amdhsa_user_sgpr_dispatch_id 0
		.amdhsa_user_sgpr_flat_scratch_init 0
		.amdhsa_user_sgpr_private_segment_size 0
		.amdhsa_uses_dynamic_stack 0
		.amdhsa_system_sgpr_private_segment_wavefront_offset 0
		.amdhsa_system_sgpr_workgroup_id_x 1
		.amdhsa_system_sgpr_workgroup_id_y 0
		.amdhsa_system_sgpr_workgroup_id_z 0
		.amdhsa_system_sgpr_workgroup_info 0
		.amdhsa_system_vgpr_workitem_id 0
		.amdhsa_next_free_vgpr 50
		.amdhsa_next_free_sgpr 24
		.amdhsa_reserve_vcc 1
		.amdhsa_reserve_flat_scratch 0
		.amdhsa_float_round_mode_32 0
		.amdhsa_float_round_mode_16_64 0
		.amdhsa_float_denorm_mode_32 3
		.amdhsa_float_denorm_mode_16_64 3
		.amdhsa_dx10_clamp 1
		.amdhsa_ieee_mode 1
		.amdhsa_fp16_overflow 0
		.amdhsa_exception_fp_ieee_invalid_op 0
		.amdhsa_exception_fp_denorm_src 0
		.amdhsa_exception_fp_ieee_div_zero 0
		.amdhsa_exception_fp_ieee_overflow 0
		.amdhsa_exception_fp_ieee_underflow 0
		.amdhsa_exception_fp_ieee_inexact 0
		.amdhsa_exception_int_div_zero 0
	.end_amdhsa_kernel
	.text
.Lfunc_end0:
	.size	fft_rtc_fwd_len1792_factors_4_4_4_4_7_wgs_224_tpt_224_halfLds_sp_ip_CI_sbrr_dirReg, .Lfunc_end0-fft_rtc_fwd_len1792_factors_4_4_4_4_7_wgs_224_tpt_224_halfLds_sp_ip_CI_sbrr_dirReg
                                        ; -- End function
	.section	.AMDGPU.csdata,"",@progbits
; Kernel info:
; codeLenInByte = 5980
; NumSgprs: 28
; NumVgprs: 50
; ScratchSize: 0
; MemoryBound: 0
; FloatMode: 240
; IeeeMode: 1
; LDSByteSize: 0 bytes/workgroup (compile time only)
; SGPRBlocks: 3
; VGPRBlocks: 12
; NumSGPRsForWavesPerEU: 28
; NumVGPRsForWavesPerEU: 50
; Occupancy: 4
; WaveLimiterHint : 1
; COMPUTE_PGM_RSRC2:SCRATCH_EN: 0
; COMPUTE_PGM_RSRC2:USER_SGPR: 6
; COMPUTE_PGM_RSRC2:TRAP_HANDLER: 0
; COMPUTE_PGM_RSRC2:TGID_X_EN: 1
; COMPUTE_PGM_RSRC2:TGID_Y_EN: 0
; COMPUTE_PGM_RSRC2:TGID_Z_EN: 0
; COMPUTE_PGM_RSRC2:TIDIG_COMP_CNT: 0
	.type	__hip_cuid_886c4956e2fa64d4,@object ; @__hip_cuid_886c4956e2fa64d4
	.section	.bss,"aw",@nobits
	.globl	__hip_cuid_886c4956e2fa64d4
__hip_cuid_886c4956e2fa64d4:
	.byte	0                               ; 0x0
	.size	__hip_cuid_886c4956e2fa64d4, 1

	.ident	"AMD clang version 19.0.0git (https://github.com/RadeonOpenCompute/llvm-project roc-6.4.0 25133 c7fe45cf4b819c5991fe208aaa96edf142730f1d)"
	.section	".note.GNU-stack","",@progbits
	.addrsig
	.addrsig_sym __hip_cuid_886c4956e2fa64d4
	.amdgpu_metadata
---
amdhsa.kernels:
  - .args:
      - .actual_access:  read_only
        .address_space:  global
        .offset:         0
        .size:           8
        .value_kind:     global_buffer
      - .offset:         8
        .size:           8
        .value_kind:     by_value
      - .actual_access:  read_only
        .address_space:  global
        .offset:         16
        .size:           8
        .value_kind:     global_buffer
      - .actual_access:  read_only
        .address_space:  global
        .offset:         24
        .size:           8
        .value_kind:     global_buffer
      - .offset:         32
        .size:           8
        .value_kind:     by_value
      - .actual_access:  read_only
        .address_space:  global
        .offset:         40
        .size:           8
        .value_kind:     global_buffer
      - .actual_access:  read_only
        .address_space:  global
        .offset:         48
        .size:           8
        .value_kind:     global_buffer
      - .offset:         56
        .size:           4
        .value_kind:     by_value
      - .actual_access:  read_only
        .address_space:  global
        .offset:         64
        .size:           8
        .value_kind:     global_buffer
      - .actual_access:  read_only
        .address_space:  global
        .offset:         72
        .size:           8
        .value_kind:     global_buffer
      - .address_space:  global
        .offset:         80
        .size:           8
        .value_kind:     global_buffer
    .group_segment_fixed_size: 0
    .kernarg_segment_align: 8
    .kernarg_segment_size: 88
    .language:       OpenCL C
    .language_version:
      - 2
      - 0
    .max_flat_workgroup_size: 224
    .name:           fft_rtc_fwd_len1792_factors_4_4_4_4_7_wgs_224_tpt_224_halfLds_sp_ip_CI_sbrr_dirReg
    .private_segment_fixed_size: 0
    .sgpr_count:     28
    .sgpr_spill_count: 0
    .symbol:         fft_rtc_fwd_len1792_factors_4_4_4_4_7_wgs_224_tpt_224_halfLds_sp_ip_CI_sbrr_dirReg.kd
    .uniform_work_group_size: 1
    .uses_dynamic_stack: false
    .vgpr_count:     50
    .vgpr_spill_count: 0
    .wavefront_size: 64
amdhsa.target:   amdgcn-amd-amdhsa--gfx906
amdhsa.version:
  - 1
  - 2
...

	.end_amdgpu_metadata
